;; amdgpu-corpus repo=llvm/llvm-project kind=harvested arch=n/a opt=n/a
// NOTE: Assertions have been autogenerated by utils/update_mc_test_checks.py UTC_ARGS: --unique --version 5
// RUN: llvm-mc -triple=amdgcn -mcpu=gfx1170 -mattr=+wavefrontsize32,+real-true16 -show-encoding %s | FileCheck --check-prefixes=GFX1170 %s
// RUN: llvm-mc -triple=amdgcn -mcpu=gfx1170 -mattr=+wavefrontsize32,+real-true16 -show-encoding %s | %extract-encodings | llvm-mc -triple=amdgcn -mcpu=gfx1170 -mattr=+wavefrontsize32,+real-true16 -disassemble -show-encoding | FileCheck --strict-whitespace --check-prefixes=GFX1170 %s

v_min_f32 v5, v1, v2
// GFX1170: v_min_num_f32_e32 v5, v1, v2            ; encoding: [0x01,0x05,0x0a,0x1e]

v_max_f32 v5, v1, v2
// GFX1170: v_max_num_f32_e32 v5, v1, v2            ; encoding: [0x01,0x05,0x0a,0x20]

v_min_f16 v5.l, v1.l, v2.l
// GFX1170: v_min_num_f16_e32 v5.l, v1.l, v2.l      ; encoding: [0x01,0x05,0x0a,0x74]

v_max_f16 v5.l, v1.l, v2.l
// GFX1170: v_max_num_f16_e32 v5.l, v1.l, v2.l      ; encoding: [0x01,0x05,0x0a,0x72]
